;; amdgpu-corpus repo=ROCm/bitsandbytes kind=harvested arch=n/a opt=n/a
	.text
	.amdgcn_target "amdgcn-amd-amdhsa--gfx90a"
	.amdhsa_code_object_version 6
	.protected	_Z18kQuantizeBlockwiseIfLi1024ELi4ELi0ELi1EEvPfPT_S0_PhS0_ii ; -- Begin function _Z18kQuantizeBlockwiseIfLi1024ELi4ELi0ELi1EEvPfPT_S0_PhS0_ii
	.globl	_Z18kQuantizeBlockwiseIfLi1024ELi4ELi0ELi1EEvPfPT_S0_PhS0_ii
	.p2align	8
	.type	_Z18kQuantizeBlockwiseIfLi1024ELi4ELi0ELi1EEvPfPT_S0_PhS0_ii,@function
_Z18kQuantizeBlockwiseIfLi1024ELi4ELi0ELi1EEvPfPT_S0_PhS0_ii: ; @_Z18kQuantizeBlockwiseIfLi1024ELi4ELi0ELi1EEvPfPT_S0_PhS0_ii
; %bb.0:
	s_load_dword s0, s[4:5], 0x30
	s_lshl_b32 s24, s6, 10
	s_waitcnt lgkmcnt(0)
	s_lshl_b32 s26, s0, 10
	s_cmp_ge_i32 s24, s26
	s_cbranch_scc1 .LBB124_125
; %bb.1:
	v_mbcnt_lo_u32_b32 v1, -1, 0
	v_lshlrev_b32_e32 v2, 2, v0
	v_mbcnt_hi_u32_b32 v1, -1, v1
	v_and_b32_e32 v2, 0xf00, v2
	s_load_dwordx2 s[0:1], s[4:5], 0x8
	s_load_dwordx4 s[16:19], s[4:5], 0x10
	s_load_dword s6, s[4:5], 0x2c
	v_or_b32_e32 v10, v1, v2
	v_lshlrev_b32_e32 v6, 2, v2
	v_add_u32_e32 v11, 64, v10
	v_lshrrev_b32_e32 v2, 5, v10
	v_lshlrev_b32_e32 v3, 2, v1
	v_or_b32_e32 v12, 0x80, v10
	v_add_lshl_u32 v14, v2, v10, 2
	v_lshrrev_b32_e32 v2, 5, v11
	s_waitcnt lgkmcnt(0)
	v_mov_b32_e32 v4, s1
	v_add_co_u32_e32 v5, vcc, s0, v3
	v_add_u32_e32 v13, 0xc0, v10
	v_add_lshl_u32 v15, v2, v11, 2
	v_lshrrev_b32_e32 v2, 5, v12
	v_addc_co_u32_e32 v4, vcc, 0, v4, vcc
	v_add_lshl_u32 v16, v2, v12, 2
	v_lshrrev_b32_e32 v2, 5, v13
	v_and_b32_e32 v18, 0x3c0, v0
	v_add_co_u32_e32 v8, vcc, v5, v6
	v_add_lshl_u32 v17, v2, v13, 2
	v_add_u32_e32 v2, v1, v18
	v_addc_co_u32_e32 v9, vcc, 0, v4, vcc
	v_lshlrev_b32_e32 v4, 2, v2
	v_bfe_u32 v5, v2, 3, 27
	v_add_lshl_u32 v19, v5, v4, 2
	v_and_b32_e32 v4, 63, v1
	v_cmp_ne_u32_e32 vcc, 63, v4
	v_addc_co_u32_e32 v5, vcc, 0, v1, vcc
	v_cmp_gt_u32_e32 vcc, 62, v4
	v_lshlrev_b32_e32 v20, 2, v5
	v_cndmask_b32_e64 v5, 0, 1, vcc
	v_lshlrev_b32_e32 v5, 1, v5
	v_cmp_gt_u32_e32 vcc, 60, v4
	v_add_lshl_u32 v22, v5, v1, 2
	v_cndmask_b32_e64 v5, 0, 1, vcc
	v_lshlrev_b32_e32 v5, 2, v5
	v_cmp_gt_u32_e32 vcc, 56, v4
	v_add_lshl_u32 v24, v5, v1, 2
	;; [unrolled: 4-line block ×3, first 2 shown]
	v_cndmask_b32_e64 v5, 0, 1, vcc
	v_cmp_gt_u32_e32 vcc, 32, v4
	v_cndmask_b32_e64 v4, 0, 1, vcc
	v_lshlrev_b32_e32 v4, 5, v4
	v_add_lshl_u32 v30, v4, v1, 2
	v_lshrrev_b32_e32 v4, 4, v0
	v_add_u32_e32 v33, 0x1290, v3
	v_and_b32_e32 v3, 3, v1
	v_and_b32_e32 v4, 60, v4
	v_cmp_ne_u32_e32 vcc, 3, v3
	v_add_u32_e32 v32, 0x1290, v4
	v_addc_co_u32_e32 v4, vcc, 0, v1, vcc
	v_cmp_gt_u32_e64 s[2:3], 4, v0
	v_add_u32_e32 v34, 1, v3
	v_cmp_gt_u32_e32 vcc, 2, v3
	v_add_u32_e32 v37, 2, v3
	v_cmp_eq_u32_e64 s[4:5], 0, v0
	v_lshlrev_b32_e32 v3, 1, v0
	v_lshrrev_b32_e32 v0, 4, v2
	v_and_b32_e32 v0, 0x7c, v0
	v_lshl_add_u32 v0, v2, 1, v0
	v_and_b32_e32 v2, 0x780, v3
	v_or_b32_e32 v38, v1, v2
	v_lshrrev_b32_e32 v3, 5, v2
	v_add_u32_e32 v40, 64, v38
	v_lshlrev_b32_e32 v35, 2, v4
	v_cndmask_b32_e64 v4, 0, 1, vcc
	v_add_u32_e32 v39, v3, v38
	v_lshrrev_b32_e32 v3, 5, v40
	v_lshlrev_b32_e32 v5, 4, v5
	v_lshlrev_b32_e32 v4, 1, v4
	v_and_b32_e32 v3, 0x7c, v3
	v_add_u32_e32 v21, 1, v1
	v_add_u32_e32 v23, 2, v1
	;; [unrolled: 1-line block ×4, first 2 shown]
	v_add_lshl_u32 v28, v5, v1, 2
	v_add_u32_e32 v29, 16, v1
	v_add_u32_e32 v31, 32, v1
	v_cmp_eq_u32_e64 s[0:1], 0, v1
	v_add_lshl_u32 v36, v4, v1, 2
	v_add_u32_e32 v41, v3, v40
	v_mov_b32_e32 v3, s19
	v_add_co_u32_e32 v1, vcc, s18, v1
	v_addc_co_u32_e32 v3, vcc, 0, v3, vcc
	v_add_co_u32_e32 v42, vcc, v1, v2
	s_mov_b32 s20, 0
	v_addc_co_u32_e32 v43, vcc, 0, v3, vcc
	s_sub_i32 s18, s6, s24
	s_mov_b32 s19, 0xff7fffff
	v_mov_b32_e32 v1, 0
	s_mov_b32 s27, 0x3e955555
	s_mov_b32 s28, 0x3db00000
	;; [unrolled: 1-line block ×7, first 2 shown]
	s_branch .LBB124_3
.LBB124_2:                              ;   in Loop: Header=BB124_3 Depth=1
	s_or_b64 exec, exec, s[6:7]
	s_add_i32 s24, s24, s26
	s_sub_i32 s18, s18, s26
	s_cmp_ge_i32 s24, s26
	s_cbranch_scc1 .LBB124_125
.LBB124_3:                              ; =>This Inner Loop Header: Depth=1
	s_ashr_i32 s25, s24, 31
	s_lshl_b64 s[6:7], s[24:25], 2
	v_mov_b32_e32 v2, s7
	v_add_co_u32_e32 v6, vcc, s6, v8
	s_mov_b32 s21, s20
	s_min_i32 s35, s18, 0x400
	v_addc_co_u32_e32 v7, vcc, v9, v2, vcc
	s_mov_b32 s22, s20
	s_mov_b32 s23, s20
	s_waitcnt lgkmcnt(0)
	v_pk_mov_b32 v[2:3], s[20:21], s[20:21] op_sel:[0,1]
	v_cmp_gt_u32_e32 vcc, s35, v10
	v_pk_mov_b32 v[4:5], s[22:23], s[22:23] op_sel:[0,1]
	v_mov_b32_e32 v44, 0
	s_barrier
	s_and_saveexec_b64 s[6:7], vcc
	s_cbranch_execnz .LBB124_122
; %bb.4:                                ;   in Loop: Header=BB124_3 Depth=1
	s_or_b64 exec, exec, s[6:7]
	v_cmp_gt_u32_e32 vcc, s35, v11
	s_and_saveexec_b64 s[6:7], vcc
	s_cbranch_execnz .LBB124_123
.LBB124_5:                              ;   in Loop: Header=BB124_3 Depth=1
	s_or_b64 exec, exec, s[6:7]
	v_cmp_gt_u32_e32 vcc, s35, v12
	s_and_saveexec_b64 s[6:7], vcc
	s_cbranch_execnz .LBB124_124
.LBB124_6:                              ;   in Loop: Header=BB124_3 Depth=1
	s_or_b64 exec, exec, s[6:7]
	v_cmp_gt_u32_e32 vcc, s35, v13
	s_and_saveexec_b64 s[6:7], vcc
	s_cbranch_execz .LBB124_8
.LBB124_7:                              ;   in Loop: Header=BB124_3 Depth=1
	global_load_dword v5, v[6:7], off offset:768
.LBB124_8:                              ;   in Loop: Header=BB124_3 Depth=1
	s_or_b64 exec, exec, s[6:7]
	s_waitcnt vmcnt(0)
	ds_write_b32 v14, v44
	ds_write_b32 v15, v3
	;; [unrolled: 1-line block ×4, first 2 shown]
	; wave barrier
	ds_read2_b32 v[4:5], v19 offset1:1
	ds_read2_b32 v[2:3], v19 offset0:2 offset1:3
	v_sub_u32_e64 v44, s35, v18 clamp
	v_cmp_lt_u32_e64 s[12:13], v31, v44
	s_waitcnt lgkmcnt(1)
	v_max3_f32 v6, |v4|, s19, |v5|
	s_waitcnt lgkmcnt(0)
	v_max3_f32 v6, v6, |v2|, |v3|
	ds_bpermute_b32 v7, v20, v6
	s_waitcnt lgkmcnt(0)
	v_cmp_lt_f32_e32 vcc, v6, v7
	v_cndmask_b32_e32 v7, v6, v7, vcc
	v_cmp_lt_u32_e32 vcc, v21, v44
	v_cndmask_b32_e32 v7, v6, v7, vcc
	ds_bpermute_b32 v45, v22, v7
	s_waitcnt lgkmcnt(0)
	v_cmp_lt_f32_e64 s[6:7], v7, v45
	v_cndmask_b32_e64 v45, v7, v45, s[6:7]
	v_cmp_lt_u32_e64 s[6:7], v23, v44
	v_cndmask_b32_e64 v7, v7, v45, s[6:7]
	ds_bpermute_b32 v45, v24, v7
	s_or_b64 s[6:7], vcc, s[6:7]
	s_waitcnt lgkmcnt(0)
	v_cmp_lt_f32_e64 s[8:9], v7, v45
	v_cndmask_b32_e64 v45, v7, v45, s[8:9]
	v_cmp_lt_u32_e64 s[8:9], v25, v44
	v_cndmask_b32_e64 v7, v7, v45, s[8:9]
	ds_bpermute_b32 v45, v26, v7
	s_or_b64 s[6:7], s[8:9], s[6:7]
	s_waitcnt lgkmcnt(0)
	v_cmp_lt_f32_e64 s[10:11], v7, v45
	v_cndmask_b32_e64 v45, v7, v45, s[10:11]
	v_cmp_lt_u32_e64 s[10:11], v27, v44
	v_cndmask_b32_e64 v7, v7, v45, s[10:11]
	ds_bpermute_b32 v45, v28, v7
	s_or_b64 s[6:7], s[10:11], s[6:7]
	;; [unrolled: 7-line block ×3, first 2 shown]
	s_waitcnt lgkmcnt(0)
	v_cmp_lt_f32_e32 vcc, v7, v44
	s_and_b64 vcc, s[12:13], vcc
	v_cndmask_b32_e32 v7, v7, v44, vcc
	s_or_b64 vcc, s[12:13], s[6:7]
	v_cndmask_b32_e32 v6, v6, v7, vcc
	s_and_saveexec_b64 s[6:7], s[0:1]
	s_cbranch_execz .LBB124_10
; %bb.9:                                ;   in Loop: Header=BB124_3 Depth=1
	ds_write_b32 v32, v6
.LBB124_10:                             ;   in Loop: Header=BB124_3 Depth=1
	s_or_b64 exec, exec, s[6:7]
	s_waitcnt lgkmcnt(0)
	s_barrier
	s_and_saveexec_b64 s[10:11], s[2:3]
	s_cbranch_execz .LBB124_12
; %bb.11:                               ;   in Loop: Header=BB124_3 Depth=1
	ds_read_b32 v6, v33
	s_add_i32 s6, s35, 63
	s_lshr_b32 s6, s6, 6
	s_waitcnt lgkmcnt(0)
	ds_bpermute_b32 v7, v35, v6
	s_waitcnt lgkmcnt(0)
	v_cmp_lt_f32_e32 vcc, v6, v7
	v_cndmask_b32_e32 v7, v6, v7, vcc
	v_cmp_gt_u32_e32 vcc, s6, v34
	v_cndmask_b32_e32 v44, v6, v7, vcc
	ds_bpermute_b32 v44, v36, v44
	v_cmp_gt_u32_e64 s[6:7], s6, v37
	s_waitcnt lgkmcnt(0)
	v_cmp_lt_f32_e64 s[8:9], v7, v44
	s_and_b64 s[6:7], s[6:7], s[8:9]
	v_cndmask_b32_e64 v7, v7, v44, s[6:7]
	v_cndmask_b32_e32 v6, v6, v7, vcc
.LBB124_12:                             ;   in Loop: Header=BB124_3 Depth=1
	s_or_b64 exec, exec, s[10:11]
	s_and_saveexec_b64 s[6:7], s[4:5]
	s_cbranch_execz .LBB124_14
; %bb.13:                               ;   in Loop: Header=BB124_3 Depth=1
	v_div_scale_f32 v7, s[8:9], v6, v6, 1.0
	v_rcp_f32_e32 v44, v7
	v_div_scale_f32 v45, vcc, 1.0, v6, 1.0
	s_ashr_i32 s8, s24, 10
	v_fma_f32 v46, -v7, v44, 1.0
	v_fmac_f32_e32 v44, v46, v44
	v_mul_f32_e32 v46, v45, v44
	v_fma_f32 v47, -v7, v46, v45
	v_fmac_f32_e32 v46, v47, v44
	s_ashr_i32 s9, s8, 31
	v_fma_f32 v7, -v7, v46, v45
	s_lshl_b64 s[8:9], s[8:9], 2
	v_div_fmas_f32 v7, v7, v44, v46
	s_add_u32 s8, s16, s8
	v_div_fixup_f32 v7, v7, v6, 1.0
	s_addc_u32 s9, s17, s9
	ds_write_b32 v1, v7 offset:4768
	global_store_dword v1, v6, s[8:9]
.LBB124_14:                             ;   in Loop: Header=BB124_3 Depth=1
	s_or_b64 exec, exec, s[6:7]
	s_waitcnt lgkmcnt(0)
	s_barrier
	ds_read_b32 v6, v1 offset:4768
	s_waitcnt lgkmcnt(0)
	v_mul_f32_e32 v7, v6, v4
	v_cmp_gt_f32_e32 vcc, 0, v7
	v_cndmask_b32_e64 v4, 0, 1, vcc
	v_cmp_ngt_f32_e64 s[6:7], |v7|, s27
	v_lshlrev_b16_e32 v4, 3, v4
	s_and_saveexec_b64 s[8:9], s[6:7]
	s_xor_b64 s[6:7], exec, s[8:9]
	s_cbranch_execz .LBB124_26
; %bb.15:                               ;   in Loop: Header=BB124_3 Depth=1
	v_cmp_ngt_f32_e64 s[8:9], |v7|, s28
	s_and_saveexec_b64 s[10:11], s[8:9]
	s_xor_b64 s[8:9], exec, s[10:11]
	s_cbranch_execz .LBB124_19
; %bb.16:                               ;   in Loop: Header=BB124_3 Depth=1
	v_cmp_gt_f32_e64 s[12:13], |v7|, s29
	s_and_saveexec_b64 s[10:11], s[12:13]
; %bb.17:                               ;   in Loop: Header=BB124_3 Depth=1
	v_or_b32_e32 v4, 1, v4
; %bb.18:                               ;   in Loop: Header=BB124_3 Depth=1
	s_or_b64 exec, exec, s[10:11]
                                        ; implicit-def: $vgpr7
.LBB124_19:                             ;   in Loop: Header=BB124_3 Depth=1
	s_andn2_saveexec_b64 s[8:9], s[8:9]
	s_cbranch_execz .LBB124_25
; %bb.20:                               ;   in Loop: Header=BB124_3 Depth=1
	v_cmp_ngt_f32_e64 s[10:11], |v7|, s30
	s_and_saveexec_b64 s[12:13], s[10:11]
	s_xor_b64 s[10:11], exec, s[12:13]
; %bb.21:                               ;   in Loop: Header=BB124_3 Depth=1
	v_or_b32_e32 v4, 6, v4
; %bb.22:                               ;   in Loop: Header=BB124_3 Depth=1
	s_andn2_saveexec_b64 s[10:11], s[10:11]
; %bb.23:                               ;   in Loop: Header=BB124_3 Depth=1
	v_or_b32_e32 v4, 7, v4
; %bb.24:                               ;   in Loop: Header=BB124_3 Depth=1
	s_or_b64 exec, exec, s[10:11]
.LBB124_25:                             ;   in Loop: Header=BB124_3 Depth=1
	s_or_b64 exec, exec, s[8:9]
                                        ; implicit-def: $vgpr7
.LBB124_26:                             ;   in Loop: Header=BB124_3 Depth=1
	s_andn2_saveexec_b64 s[6:7], s[6:7]
	s_cbranch_execz .LBB124_40
; %bb.27:                               ;   in Loop: Header=BB124_3 Depth=1
	v_cmp_ngt_f32_e64 s[8:9], |v7|, s31
	s_and_saveexec_b64 s[10:11], s[8:9]
	s_xor_b64 s[8:9], exec, s[10:11]
	s_cbranch_execz .LBB124_33
; %bb.28:                               ;   in Loop: Header=BB124_3 Depth=1
	v_cmp_ngt_f32_e64 s[10:11], |v7|, s33
	s_and_saveexec_b64 s[12:13], s[10:11]
	s_xor_b64 s[10:11], exec, s[12:13]
; %bb.29:                               ;   in Loop: Header=BB124_3 Depth=1
	v_or_b32_e32 v4, 4, v4
; %bb.30:                               ;   in Loop: Header=BB124_3 Depth=1
	s_andn2_saveexec_b64 s[10:11], s[10:11]
; %bb.31:                               ;   in Loop: Header=BB124_3 Depth=1
	v_or_b32_e32 v4, 5, v4
; %bb.32:                               ;   in Loop: Header=BB124_3 Depth=1
	s_or_b64 exec, exec, s[10:11]
                                        ; implicit-def: $vgpr7
.LBB124_33:                             ;   in Loop: Header=BB124_3 Depth=1
	s_andn2_saveexec_b64 s[8:9], s[8:9]
	s_cbranch_execz .LBB124_39
; %bb.34:                               ;   in Loop: Header=BB124_3 Depth=1
	v_cmp_ngt_f32_e64 s[10:11], |v7|, s34
	s_and_saveexec_b64 s[12:13], s[10:11]
	s_xor_b64 s[10:11], exec, s[12:13]
; %bb.35:                               ;   in Loop: Header=BB124_3 Depth=1
	v_or_b32_e32 v4, 2, v4
; %bb.36:                               ;   in Loop: Header=BB124_3 Depth=1
	s_andn2_saveexec_b64 s[10:11], s[10:11]
; %bb.37:                               ;   in Loop: Header=BB124_3 Depth=1
	v_or_b32_e32 v4, 3, v4
; %bb.38:                               ;   in Loop: Header=BB124_3 Depth=1
	s_or_b64 exec, exec, s[10:11]
.LBB124_39:                             ;   in Loop: Header=BB124_3 Depth=1
	s_or_b64 exec, exec, s[8:9]
.LBB124_40:                             ;   in Loop: Header=BB124_3 Depth=1
	s_or_b64 exec, exec, s[6:7]
	v_mul_f32_e32 v7, v6, v5
	v_cmp_gt_f32_e32 vcc, 0, v7
	v_cndmask_b32_e64 v5, 0, 1, vcc
	v_cmp_ngt_f32_e64 s[6:7], |v7|, s27
	v_lshlrev_b16_e32 v5, 3, v5
	s_and_saveexec_b64 s[8:9], s[6:7]
	s_xor_b64 s[6:7], exec, s[8:9]
	s_cbranch_execz .LBB124_52
; %bb.41:                               ;   in Loop: Header=BB124_3 Depth=1
	v_cmp_ngt_f32_e64 s[8:9], |v7|, s28
	s_and_saveexec_b64 s[10:11], s[8:9]
	s_xor_b64 s[8:9], exec, s[10:11]
	s_cbranch_execz .LBB124_45
; %bb.42:                               ;   in Loop: Header=BB124_3 Depth=1
	v_cmp_gt_f32_e64 s[12:13], |v7|, s29
	s_and_saveexec_b64 s[10:11], s[12:13]
; %bb.43:                               ;   in Loop: Header=BB124_3 Depth=1
	v_or_b32_e32 v5, 1, v5
; %bb.44:                               ;   in Loop: Header=BB124_3 Depth=1
	s_or_b64 exec, exec, s[10:11]
                                        ; implicit-def: $vgpr7
.LBB124_45:                             ;   in Loop: Header=BB124_3 Depth=1
	s_andn2_saveexec_b64 s[8:9], s[8:9]
	s_cbranch_execz .LBB124_51
; %bb.46:                               ;   in Loop: Header=BB124_3 Depth=1
	v_cmp_ngt_f32_e64 s[10:11], |v7|, s30
	s_and_saveexec_b64 s[12:13], s[10:11]
	s_xor_b64 s[10:11], exec, s[12:13]
; %bb.47:                               ;   in Loop: Header=BB124_3 Depth=1
	v_or_b32_e32 v5, 6, v5
; %bb.48:                               ;   in Loop: Header=BB124_3 Depth=1
	s_andn2_saveexec_b64 s[10:11], s[10:11]
; %bb.49:                               ;   in Loop: Header=BB124_3 Depth=1
	v_or_b32_e32 v5, 7, v5
; %bb.50:                               ;   in Loop: Header=BB124_3 Depth=1
	s_or_b64 exec, exec, s[10:11]
.LBB124_51:                             ;   in Loop: Header=BB124_3 Depth=1
	s_or_b64 exec, exec, s[8:9]
                                        ; implicit-def: $vgpr7
.LBB124_52:                             ;   in Loop: Header=BB124_3 Depth=1
	s_andn2_saveexec_b64 s[6:7], s[6:7]
	s_cbranch_execz .LBB124_66
; %bb.53:                               ;   in Loop: Header=BB124_3 Depth=1
	v_cmp_ngt_f32_e64 s[8:9], |v7|, s31
	s_and_saveexec_b64 s[10:11], s[8:9]
	s_xor_b64 s[8:9], exec, s[10:11]
	s_cbranch_execz .LBB124_59
; %bb.54:                               ;   in Loop: Header=BB124_3 Depth=1
	v_cmp_ngt_f32_e64 s[10:11], |v7|, s33
	s_and_saveexec_b64 s[12:13], s[10:11]
	s_xor_b64 s[10:11], exec, s[12:13]
; %bb.55:                               ;   in Loop: Header=BB124_3 Depth=1
	v_or_b32_e32 v5, 4, v5
; %bb.56:                               ;   in Loop: Header=BB124_3 Depth=1
	s_andn2_saveexec_b64 s[10:11], s[10:11]
; %bb.57:                               ;   in Loop: Header=BB124_3 Depth=1
	v_or_b32_e32 v5, 5, v5
; %bb.58:                               ;   in Loop: Header=BB124_3 Depth=1
	s_or_b64 exec, exec, s[10:11]
                                        ; implicit-def: $vgpr7
.LBB124_59:                             ;   in Loop: Header=BB124_3 Depth=1
	s_andn2_saveexec_b64 s[8:9], s[8:9]
	s_cbranch_execz .LBB124_65
; %bb.60:                               ;   in Loop: Header=BB124_3 Depth=1
	v_cmp_ngt_f32_e64 s[10:11], |v7|, s34
	s_and_saveexec_b64 s[12:13], s[10:11]
	s_xor_b64 s[10:11], exec, s[12:13]
; %bb.61:                               ;   in Loop: Header=BB124_3 Depth=1
	v_or_b32_e32 v5, 2, v5
; %bb.62:                               ;   in Loop: Header=BB124_3 Depth=1
	s_andn2_saveexec_b64 s[10:11], s[10:11]
; %bb.63:                               ;   in Loop: Header=BB124_3 Depth=1
	v_or_b32_e32 v5, 3, v5
; %bb.64:                               ;   in Loop: Header=BB124_3 Depth=1
	s_or_b64 exec, exec, s[10:11]
.LBB124_65:                             ;   in Loop: Header=BB124_3 Depth=1
	s_or_b64 exec, exec, s[8:9]
.LBB124_66:                             ;   in Loop: Header=BB124_3 Depth=1
	s_or_b64 exec, exec, s[6:7]
	v_mul_f32_e32 v7, v6, v2
	v_cmp_gt_f32_e32 vcc, 0, v7
	v_cndmask_b32_e64 v2, 0, 1, vcc
	v_cmp_ngt_f32_e64 s[6:7], |v7|, s27
	v_lshlrev_b16_e32 v2, 3, v2
	s_and_saveexec_b64 s[8:9], s[6:7]
	s_xor_b64 s[6:7], exec, s[8:9]
	s_cbranch_execz .LBB124_78
; %bb.67:                               ;   in Loop: Header=BB124_3 Depth=1
	v_cmp_ngt_f32_e64 s[8:9], |v7|, s28
	s_and_saveexec_b64 s[10:11], s[8:9]
	s_xor_b64 s[8:9], exec, s[10:11]
	s_cbranch_execz .LBB124_71
; %bb.68:                               ;   in Loop: Header=BB124_3 Depth=1
	v_cmp_gt_f32_e64 s[12:13], |v7|, s29
	s_and_saveexec_b64 s[10:11], s[12:13]
; %bb.69:                               ;   in Loop: Header=BB124_3 Depth=1
	v_or_b32_e32 v2, 1, v2
; %bb.70:                               ;   in Loop: Header=BB124_3 Depth=1
	s_or_b64 exec, exec, s[10:11]
                                        ; implicit-def: $vgpr7
.LBB124_71:                             ;   in Loop: Header=BB124_3 Depth=1
	s_andn2_saveexec_b64 s[8:9], s[8:9]
	s_cbranch_execz .LBB124_77
; %bb.72:                               ;   in Loop: Header=BB124_3 Depth=1
	v_cmp_ngt_f32_e64 s[10:11], |v7|, s30
	s_and_saveexec_b64 s[12:13], s[10:11]
	s_xor_b64 s[10:11], exec, s[12:13]
; %bb.73:                               ;   in Loop: Header=BB124_3 Depth=1
	v_or_b32_e32 v2, 6, v2
; %bb.74:                               ;   in Loop: Header=BB124_3 Depth=1
	s_andn2_saveexec_b64 s[10:11], s[10:11]
; %bb.75:                               ;   in Loop: Header=BB124_3 Depth=1
	v_or_b32_e32 v2, 7, v2
; %bb.76:                               ;   in Loop: Header=BB124_3 Depth=1
	s_or_b64 exec, exec, s[10:11]
.LBB124_77:                             ;   in Loop: Header=BB124_3 Depth=1
	s_or_b64 exec, exec, s[8:9]
                                        ; implicit-def: $vgpr7
.LBB124_78:                             ;   in Loop: Header=BB124_3 Depth=1
	s_andn2_saveexec_b64 s[6:7], s[6:7]
	s_cbranch_execz .LBB124_92
; %bb.79:                               ;   in Loop: Header=BB124_3 Depth=1
	v_cmp_ngt_f32_e64 s[8:9], |v7|, s31
	s_and_saveexec_b64 s[10:11], s[8:9]
	s_xor_b64 s[8:9], exec, s[10:11]
	s_cbranch_execz .LBB124_85
; %bb.80:                               ;   in Loop: Header=BB124_3 Depth=1
	v_cmp_ngt_f32_e64 s[10:11], |v7|, s33
	s_and_saveexec_b64 s[12:13], s[10:11]
	s_xor_b64 s[10:11], exec, s[12:13]
; %bb.81:                               ;   in Loop: Header=BB124_3 Depth=1
	v_or_b32_e32 v2, 4, v2
; %bb.82:                               ;   in Loop: Header=BB124_3 Depth=1
	s_andn2_saveexec_b64 s[10:11], s[10:11]
; %bb.83:                               ;   in Loop: Header=BB124_3 Depth=1
	v_or_b32_e32 v2, 5, v2
; %bb.84:                               ;   in Loop: Header=BB124_3 Depth=1
	s_or_b64 exec, exec, s[10:11]
                                        ; implicit-def: $vgpr7
.LBB124_85:                             ;   in Loop: Header=BB124_3 Depth=1
	s_andn2_saveexec_b64 s[8:9], s[8:9]
	s_cbranch_execz .LBB124_91
; %bb.86:                               ;   in Loop: Header=BB124_3 Depth=1
	v_cmp_ngt_f32_e64 s[10:11], |v7|, s34
	s_and_saveexec_b64 s[12:13], s[10:11]
	s_xor_b64 s[10:11], exec, s[12:13]
; %bb.87:                               ;   in Loop: Header=BB124_3 Depth=1
	v_or_b32_e32 v2, 2, v2
; %bb.88:                               ;   in Loop: Header=BB124_3 Depth=1
	s_andn2_saveexec_b64 s[10:11], s[10:11]
; %bb.89:                               ;   in Loop: Header=BB124_3 Depth=1
	v_or_b32_e32 v2, 3, v2
; %bb.90:                               ;   in Loop: Header=BB124_3 Depth=1
	s_or_b64 exec, exec, s[10:11]
.LBB124_91:                             ;   in Loop: Header=BB124_3 Depth=1
	s_or_b64 exec, exec, s[8:9]
.LBB124_92:                             ;   in Loop: Header=BB124_3 Depth=1
	s_or_b64 exec, exec, s[6:7]
	v_mul_f32_e32 v6, v6, v3
	v_cmp_gt_f32_e32 vcc, 0, v6
	v_cndmask_b32_e64 v3, 0, 1, vcc
	v_cmp_ngt_f32_e64 s[6:7], |v6|, s27
	v_lshlrev_b16_e32 v3, 3, v3
	s_and_saveexec_b64 s[8:9], s[6:7]
	s_xor_b64 s[6:7], exec, s[8:9]
	s_cbranch_execz .LBB124_104
; %bb.93:                               ;   in Loop: Header=BB124_3 Depth=1
	v_cmp_ngt_f32_e64 s[8:9], |v6|, s28
	s_and_saveexec_b64 s[10:11], s[8:9]
	s_xor_b64 s[8:9], exec, s[10:11]
	s_cbranch_execz .LBB124_97
; %bb.94:                               ;   in Loop: Header=BB124_3 Depth=1
	v_cmp_gt_f32_e64 s[12:13], |v6|, s29
	s_and_saveexec_b64 s[10:11], s[12:13]
; %bb.95:                               ;   in Loop: Header=BB124_3 Depth=1
	v_or_b32_e32 v3, 1, v3
; %bb.96:                               ;   in Loop: Header=BB124_3 Depth=1
	s_or_b64 exec, exec, s[10:11]
                                        ; implicit-def: $vgpr6
.LBB124_97:                             ;   in Loop: Header=BB124_3 Depth=1
	s_andn2_saveexec_b64 s[8:9], s[8:9]
	s_cbranch_execz .LBB124_103
; %bb.98:                               ;   in Loop: Header=BB124_3 Depth=1
	v_cmp_ngt_f32_e64 s[10:11], |v6|, s30
	s_and_saveexec_b64 s[12:13], s[10:11]
	s_xor_b64 s[10:11], exec, s[12:13]
; %bb.99:                               ;   in Loop: Header=BB124_3 Depth=1
	v_or_b32_e32 v3, 6, v3
; %bb.100:                              ;   in Loop: Header=BB124_3 Depth=1
	s_andn2_saveexec_b64 s[10:11], s[10:11]
; %bb.101:                              ;   in Loop: Header=BB124_3 Depth=1
	v_or_b32_e32 v3, 7, v3
; %bb.102:                              ;   in Loop: Header=BB124_3 Depth=1
	s_or_b64 exec, exec, s[10:11]
.LBB124_103:                            ;   in Loop: Header=BB124_3 Depth=1
	s_or_b64 exec, exec, s[8:9]
                                        ; implicit-def: $vgpr6
.LBB124_104:                            ;   in Loop: Header=BB124_3 Depth=1
	s_andn2_saveexec_b64 s[6:7], s[6:7]
	s_cbranch_execz .LBB124_118
; %bb.105:                              ;   in Loop: Header=BB124_3 Depth=1
	v_cmp_ngt_f32_e64 s[8:9], |v6|, s31
	s_and_saveexec_b64 s[10:11], s[8:9]
	s_xor_b64 s[8:9], exec, s[10:11]
	s_cbranch_execz .LBB124_111
; %bb.106:                              ;   in Loop: Header=BB124_3 Depth=1
	v_cmp_ngt_f32_e64 s[10:11], |v6|, s33
	s_and_saveexec_b64 s[12:13], s[10:11]
	s_xor_b64 s[10:11], exec, s[12:13]
; %bb.107:                              ;   in Loop: Header=BB124_3 Depth=1
	v_or_b32_e32 v3, 4, v3
; %bb.108:                              ;   in Loop: Header=BB124_3 Depth=1
	s_andn2_saveexec_b64 s[10:11], s[10:11]
; %bb.109:                              ;   in Loop: Header=BB124_3 Depth=1
	v_or_b32_e32 v3, 5, v3
; %bb.110:                              ;   in Loop: Header=BB124_3 Depth=1
	s_or_b64 exec, exec, s[10:11]
                                        ; implicit-def: $vgpr6
.LBB124_111:                            ;   in Loop: Header=BB124_3 Depth=1
	s_andn2_saveexec_b64 s[8:9], s[8:9]
	s_cbranch_execz .LBB124_117
; %bb.112:                              ;   in Loop: Header=BB124_3 Depth=1
	v_cmp_ngt_f32_e64 s[10:11], |v6|, s34
	s_and_saveexec_b64 s[12:13], s[10:11]
	s_xor_b64 s[10:11], exec, s[12:13]
; %bb.113:                              ;   in Loop: Header=BB124_3 Depth=1
	v_or_b32_e32 v3, 2, v3
; %bb.114:                              ;   in Loop: Header=BB124_3 Depth=1
	s_andn2_saveexec_b64 s[10:11], s[10:11]
; %bb.115:                              ;   in Loop: Header=BB124_3 Depth=1
	v_or_b32_e32 v3, 3, v3
; %bb.116:                              ;   in Loop: Header=BB124_3 Depth=1
	s_or_b64 exec, exec, s[10:11]
.LBB124_117:                            ;   in Loop: Header=BB124_3 Depth=1
	s_or_b64 exec, exec, s[8:9]
.LBB124_118:                            ;   in Loop: Header=BB124_3 Depth=1
	s_or_b64 exec, exec, s[6:7]
	v_lshlrev_b16_e32 v4, 4, v4
	v_lshlrev_b16_e32 v2, 4, v2
	v_or_b32_e32 v4, v5, v4
	v_or_b32_e32 v2, v3, v2
	s_barrier
	s_ashr_i32 s6, s24, 1
	s_add_i32 s8, s35, 1
	ds_write_b8 v0, v4 offset:4224
	ds_write_b8 v0, v2 offset:4225
	; wave barrier
	ds_read_u8 v4, v41 offset:4224
	s_ashr_i32 s7, s6, 31
	s_lshr_b32 s9, s8, 31
	s_add_i32 s8, s8, s9
	v_mov_b32_e32 v3, s7
	v_add_co_u32_e32 v2, vcc, s6, v42
	s_ashr_i32 s8, s8, 1
	v_addc_co_u32_e32 v3, vcc, v43, v3, vcc
	v_cmp_gt_u32_e32 vcc, s8, v38
	s_and_saveexec_b64 s[6:7], vcc
	s_xor_b64 s[6:7], exec, s[6:7]
	s_cbranch_execz .LBB124_120
; %bb.119:                              ;   in Loop: Header=BB124_3 Depth=1
	ds_read_u8 v5, v39 offset:4224
	s_waitcnt lgkmcnt(0)
	global_store_byte v[2:3], v5, off
.LBB124_120:                            ;   in Loop: Header=BB124_3 Depth=1
	s_or_b64 exec, exec, s[6:7]
	v_cmp_gt_u32_e32 vcc, s8, v40
	s_and_saveexec_b64 s[6:7], vcc
	s_cbranch_execz .LBB124_2
; %bb.121:                              ;   in Loop: Header=BB124_3 Depth=1
	s_waitcnt lgkmcnt(0)
	global_store_byte v[2:3], v4, off offset:64
	s_branch .LBB124_2
.LBB124_122:                            ;   in Loop: Header=BB124_3 Depth=1
	global_load_dword v44, v[6:7], off
	v_mov_b32_e32 v2, v1
	v_mov_b32_e32 v3, v1
	v_pk_mov_b32 v[4:5], v[2:3], v[2:3] op_sel:[0,1]
	v_pk_mov_b32 v[2:3], v[0:1], v[0:1] op_sel:[0,1]
	s_or_b64 exec, exec, s[6:7]
	v_cmp_gt_u32_e32 vcc, s35, v11
	s_and_saveexec_b64 s[6:7], vcc
	s_cbranch_execz .LBB124_5
.LBB124_123:                            ;   in Loop: Header=BB124_3 Depth=1
	global_load_dword v3, v[6:7], off offset:256
	s_or_b64 exec, exec, s[6:7]
	v_cmp_gt_u32_e32 vcc, s35, v12
	s_and_saveexec_b64 s[6:7], vcc
	s_cbranch_execz .LBB124_6
.LBB124_124:                            ;   in Loop: Header=BB124_3 Depth=1
	global_load_dword v4, v[6:7], off offset:512
	s_or_b64 exec, exec, s[6:7]
	v_cmp_gt_u32_e32 vcc, s35, v13
	s_and_saveexec_b64 s[6:7], vcc
	s_cbranch_execnz .LBB124_7
	s_branch .LBB124_8
.LBB124_125:
	s_endpgm
	.section	.rodata,"a",@progbits
	.p2align	6, 0x0
	.amdhsa_kernel _Z18kQuantizeBlockwiseIfLi1024ELi4ELi0ELi1EEvPfPT_S0_PhS0_ii
		.amdhsa_group_segment_fixed_size 4772
		.amdhsa_private_segment_fixed_size 0
		.amdhsa_kernarg_size 304
		.amdhsa_user_sgpr_count 6
		.amdhsa_user_sgpr_private_segment_buffer 1
		.amdhsa_user_sgpr_dispatch_ptr 0
		.amdhsa_user_sgpr_queue_ptr 0
		.amdhsa_user_sgpr_kernarg_segment_ptr 1
		.amdhsa_user_sgpr_dispatch_id 0
		.amdhsa_user_sgpr_flat_scratch_init 0
		.amdhsa_user_sgpr_kernarg_preload_length 0
		.amdhsa_user_sgpr_kernarg_preload_offset 0
		.amdhsa_user_sgpr_private_segment_size 0
		.amdhsa_uses_dynamic_stack 0
		.amdhsa_system_sgpr_private_segment_wavefront_offset 0
		.amdhsa_system_sgpr_workgroup_id_x 1
		.amdhsa_system_sgpr_workgroup_id_y 0
		.amdhsa_system_sgpr_workgroup_id_z 0
		.amdhsa_system_sgpr_workgroup_info 0
		.amdhsa_system_vgpr_workitem_id 0
		.amdhsa_next_free_vgpr 48
		.amdhsa_next_free_sgpr 36
		.amdhsa_accum_offset 48
		.amdhsa_reserve_vcc 1
		.amdhsa_reserve_flat_scratch 0
		.amdhsa_float_round_mode_32 0
		.amdhsa_float_round_mode_16_64 0
		.amdhsa_float_denorm_mode_32 3
		.amdhsa_float_denorm_mode_16_64 3
		.amdhsa_dx10_clamp 1
		.amdhsa_ieee_mode 1
		.amdhsa_fp16_overflow 0
		.amdhsa_tg_split 0
		.amdhsa_exception_fp_ieee_invalid_op 0
		.amdhsa_exception_fp_denorm_src 0
		.amdhsa_exception_fp_ieee_div_zero 0
		.amdhsa_exception_fp_ieee_overflow 0
		.amdhsa_exception_fp_ieee_underflow 0
		.amdhsa_exception_fp_ieee_inexact 0
		.amdhsa_exception_int_div_zero 0
	.end_amdhsa_kernel
	.section	.text._Z18kQuantizeBlockwiseIfLi1024ELi4ELi0ELi1EEvPfPT_S0_PhS0_ii,"axG",@progbits,_Z18kQuantizeBlockwiseIfLi1024ELi4ELi0ELi1EEvPfPT_S0_PhS0_ii,comdat
.Lfunc_end124:
	.size	_Z18kQuantizeBlockwiseIfLi1024ELi4ELi0ELi1EEvPfPT_S0_PhS0_ii, .Lfunc_end124-_Z18kQuantizeBlockwiseIfLi1024ELi4ELi0ELi1EEvPfPT_S0_PhS0_ii
                                        ; -- End function
	.section	.AMDGPU.csdata,"",@progbits
; Kernel info:
; codeLenInByte = 2592
; NumSgprs: 40
; NumVgprs: 48
; NumAgprs: 0
; TotalNumVgprs: 48
; ScratchSize: 0
; MemoryBound: 0
; FloatMode: 240
; IeeeMode: 1
; LDSByteSize: 4772 bytes/workgroup (compile time only)
; SGPRBlocks: 4
; VGPRBlocks: 5
; NumSGPRsForWavesPerEU: 40
; NumVGPRsForWavesPerEU: 48
; AccumOffset: 48
; Occupancy: 8
; WaveLimiterHint : 0
; COMPUTE_PGM_RSRC2:SCRATCH_EN: 0
; COMPUTE_PGM_RSRC2:USER_SGPR: 6
; COMPUTE_PGM_RSRC2:TRAP_HANDLER: 0
; COMPUTE_PGM_RSRC2:TGID_X_EN: 1
; COMPUTE_PGM_RSRC2:TGID_Y_EN: 0
; COMPUTE_PGM_RSRC2:TGID_Z_EN: 0
; COMPUTE_PGM_RSRC2:TIDIG_COMP_CNT: 0
; COMPUTE_PGM_RSRC3_GFX90A:ACCUM_OFFSET: 11
; COMPUTE_PGM_RSRC3_GFX90A:TG_SPLIT: 0
	.section	.text._Z18kQuantizeBlockwiseIfLi512ELi2ELi0ELi1EEvPfPT_S0_PhS0_ii,"axG",@progbits,_Z18kQuantizeBlockwiseIfLi512ELi2ELi0ELi1EEvPfPT_S0_PhS0_ii,comdat
